;; amdgpu-corpus repo=ROCm/rocFFT kind=compiled arch=gfx906 opt=O3
	.text
	.amdgcn_target "amdgcn-amd-amdhsa--gfx906"
	.amdhsa_code_object_version 6
	.protected	fft_rtc_back_len880_factors_2_2_2_2_11_5_wgs_176_tpt_88_halfLds_dp_ip_CI_unitstride_sbrr_C2R_dirReg ; -- Begin function fft_rtc_back_len880_factors_2_2_2_2_11_5_wgs_176_tpt_88_halfLds_dp_ip_CI_unitstride_sbrr_C2R_dirReg
	.globl	fft_rtc_back_len880_factors_2_2_2_2_11_5_wgs_176_tpt_88_halfLds_dp_ip_CI_unitstride_sbrr_C2R_dirReg
	.p2align	8
	.type	fft_rtc_back_len880_factors_2_2_2_2_11_5_wgs_176_tpt_88_halfLds_dp_ip_CI_unitstride_sbrr_C2R_dirReg,@function
fft_rtc_back_len880_factors_2_2_2_2_11_5_wgs_176_tpt_88_halfLds_dp_ip_CI_unitstride_sbrr_C2R_dirReg: ; @fft_rtc_back_len880_factors_2_2_2_2_11_5_wgs_176_tpt_88_halfLds_dp_ip_CI_unitstride_sbrr_C2R_dirReg
; %bb.0:
	s_load_dwordx2 s[2:3], s[4:5], 0x50
	s_load_dwordx4 s[8:11], s[4:5], 0x0
	s_load_dwordx2 s[12:13], s[4:5], 0x18
	v_mul_u32_u24_e32 v1, 0x2e9, v0
	v_lshrrev_b32_e32 v9, 16, v1
	v_mov_b32_e32 v3, 0
	s_waitcnt lgkmcnt(0)
	v_cmp_lt_u64_e64 s[0:1], s[10:11], 2
	v_mov_b32_e32 v1, 0
	v_lshl_add_u32 v5, s6, 1, v9
	v_mov_b32_e32 v6, v3
	s_and_b64 vcc, exec, s[0:1]
	v_mov_b32_e32 v2, 0
	s_cbranch_vccnz .LBB0_8
; %bb.1:
	s_load_dwordx2 s[0:1], s[4:5], 0x10
	s_add_u32 s6, s12, 8
	s_addc_u32 s7, s13, 0
	v_mov_b32_e32 v1, 0
	v_mov_b32_e32 v2, 0
	s_waitcnt lgkmcnt(0)
	s_add_u32 s14, s0, 8
	s_addc_u32 s15, s1, 0
	s_mov_b64 s[16:17], 1
.LBB0_2:                                ; =>This Inner Loop Header: Depth=1
	s_load_dwordx2 s[18:19], s[14:15], 0x0
                                        ; implicit-def: $vgpr7_vgpr8
	s_waitcnt lgkmcnt(0)
	v_or_b32_e32 v4, s19, v6
	v_cmp_ne_u64_e32 vcc, 0, v[3:4]
	s_and_saveexec_b64 s[0:1], vcc
	s_xor_b64 s[20:21], exec, s[0:1]
	s_cbranch_execz .LBB0_4
; %bb.3:                                ;   in Loop: Header=BB0_2 Depth=1
	v_cvt_f32_u32_e32 v4, s18
	v_cvt_f32_u32_e32 v7, s19
	s_sub_u32 s0, 0, s18
	s_subb_u32 s1, 0, s19
	v_mac_f32_e32 v4, 0x4f800000, v7
	v_rcp_f32_e32 v4, v4
	v_mul_f32_e32 v4, 0x5f7ffffc, v4
	v_mul_f32_e32 v7, 0x2f800000, v4
	v_trunc_f32_e32 v7, v7
	v_mac_f32_e32 v4, 0xcf800000, v7
	v_cvt_u32_f32_e32 v7, v7
	v_cvt_u32_f32_e32 v4, v4
	v_mul_lo_u32 v8, s0, v7
	v_mul_hi_u32 v10, s0, v4
	v_mul_lo_u32 v12, s1, v4
	v_mul_lo_u32 v11, s0, v4
	v_add_u32_e32 v8, v10, v8
	v_add_u32_e32 v8, v8, v12
	v_mul_hi_u32 v10, v4, v11
	v_mul_lo_u32 v12, v4, v8
	v_mul_hi_u32 v14, v4, v8
	v_mul_hi_u32 v13, v7, v11
	v_mul_lo_u32 v11, v7, v11
	v_mul_hi_u32 v15, v7, v8
	v_add_co_u32_e32 v10, vcc, v10, v12
	v_addc_co_u32_e32 v12, vcc, 0, v14, vcc
	v_mul_lo_u32 v8, v7, v8
	v_add_co_u32_e32 v10, vcc, v10, v11
	v_addc_co_u32_e32 v10, vcc, v12, v13, vcc
	v_addc_co_u32_e32 v11, vcc, 0, v15, vcc
	v_add_co_u32_e32 v8, vcc, v10, v8
	v_addc_co_u32_e32 v10, vcc, 0, v11, vcc
	v_add_co_u32_e32 v4, vcc, v4, v8
	v_addc_co_u32_e32 v7, vcc, v7, v10, vcc
	v_mul_lo_u32 v8, s0, v7
	v_mul_hi_u32 v10, s0, v4
	v_mul_lo_u32 v11, s1, v4
	v_mul_lo_u32 v12, s0, v4
	v_add_u32_e32 v8, v10, v8
	v_add_u32_e32 v8, v8, v11
	v_mul_lo_u32 v13, v4, v8
	v_mul_hi_u32 v14, v4, v12
	v_mul_hi_u32 v15, v4, v8
	;; [unrolled: 1-line block ×3, first 2 shown]
	v_mul_lo_u32 v12, v7, v12
	v_mul_hi_u32 v10, v7, v8
	v_add_co_u32_e32 v13, vcc, v14, v13
	v_addc_co_u32_e32 v14, vcc, 0, v15, vcc
	v_mul_lo_u32 v8, v7, v8
	v_add_co_u32_e32 v12, vcc, v13, v12
	v_addc_co_u32_e32 v11, vcc, v14, v11, vcc
	v_addc_co_u32_e32 v10, vcc, 0, v10, vcc
	v_add_co_u32_e32 v8, vcc, v11, v8
	v_addc_co_u32_e32 v10, vcc, 0, v10, vcc
	v_add_co_u32_e32 v4, vcc, v4, v8
	v_addc_co_u32_e32 v10, vcc, v7, v10, vcc
	v_mad_u64_u32 v[7:8], s[0:1], v5, v10, 0
	v_mul_hi_u32 v11, v5, v4
	v_add_co_u32_e32 v12, vcc, v11, v7
	v_addc_co_u32_e32 v13, vcc, 0, v8, vcc
	v_mad_u64_u32 v[7:8], s[0:1], v6, v4, 0
	v_mad_u64_u32 v[10:11], s[0:1], v6, v10, 0
	v_add_co_u32_e32 v4, vcc, v12, v7
	v_addc_co_u32_e32 v4, vcc, v13, v8, vcc
	v_addc_co_u32_e32 v7, vcc, 0, v11, vcc
	v_add_co_u32_e32 v4, vcc, v4, v10
	v_addc_co_u32_e32 v10, vcc, 0, v7, vcc
	v_mul_lo_u32 v11, s19, v4
	v_mul_lo_u32 v12, s18, v10
	v_mad_u64_u32 v[7:8], s[0:1], s18, v4, 0
	v_add3_u32 v8, v8, v12, v11
	v_sub_u32_e32 v11, v6, v8
	v_mov_b32_e32 v12, s19
	v_sub_co_u32_e32 v7, vcc, v5, v7
	v_subb_co_u32_e64 v11, s[0:1], v11, v12, vcc
	v_subrev_co_u32_e64 v12, s[0:1], s18, v7
	v_subbrev_co_u32_e64 v11, s[0:1], 0, v11, s[0:1]
	v_cmp_le_u32_e64 s[0:1], s19, v11
	v_cndmask_b32_e64 v13, 0, -1, s[0:1]
	v_cmp_le_u32_e64 s[0:1], s18, v12
	v_cndmask_b32_e64 v12, 0, -1, s[0:1]
	v_cmp_eq_u32_e64 s[0:1], s19, v11
	v_cndmask_b32_e64 v11, v13, v12, s[0:1]
	v_add_co_u32_e64 v12, s[0:1], 2, v4
	v_addc_co_u32_e64 v13, s[0:1], 0, v10, s[0:1]
	v_add_co_u32_e64 v14, s[0:1], 1, v4
	v_addc_co_u32_e64 v15, s[0:1], 0, v10, s[0:1]
	v_subb_co_u32_e32 v8, vcc, v6, v8, vcc
	v_cmp_ne_u32_e64 s[0:1], 0, v11
	v_cmp_le_u32_e32 vcc, s19, v8
	v_cndmask_b32_e64 v11, v15, v13, s[0:1]
	v_cndmask_b32_e64 v13, 0, -1, vcc
	v_cmp_le_u32_e32 vcc, s18, v7
	v_cndmask_b32_e64 v7, 0, -1, vcc
	v_cmp_eq_u32_e32 vcc, s19, v8
	v_cndmask_b32_e32 v7, v13, v7, vcc
	v_cmp_ne_u32_e32 vcc, 0, v7
	v_cndmask_b32_e64 v7, v14, v12, s[0:1]
	v_cndmask_b32_e32 v8, v10, v11, vcc
	v_cndmask_b32_e32 v7, v4, v7, vcc
.LBB0_4:                                ;   in Loop: Header=BB0_2 Depth=1
	s_andn2_saveexec_b64 s[0:1], s[20:21]
	s_cbranch_execz .LBB0_6
; %bb.5:                                ;   in Loop: Header=BB0_2 Depth=1
	v_cvt_f32_u32_e32 v4, s18
	s_sub_i32 s20, 0, s18
	v_rcp_iflag_f32_e32 v4, v4
	v_mul_f32_e32 v4, 0x4f7ffffe, v4
	v_cvt_u32_f32_e32 v4, v4
	v_mul_lo_u32 v7, s20, v4
	v_mul_hi_u32 v7, v4, v7
	v_add_u32_e32 v4, v4, v7
	v_mul_hi_u32 v4, v5, v4
	v_mul_lo_u32 v7, v4, s18
	v_add_u32_e32 v8, 1, v4
	v_sub_u32_e32 v7, v5, v7
	v_subrev_u32_e32 v10, s18, v7
	v_cmp_le_u32_e32 vcc, s18, v7
	v_cndmask_b32_e32 v7, v7, v10, vcc
	v_cndmask_b32_e32 v4, v4, v8, vcc
	v_add_u32_e32 v8, 1, v4
	v_cmp_le_u32_e32 vcc, s18, v7
	v_cndmask_b32_e32 v7, v4, v8, vcc
	v_mov_b32_e32 v8, v3
.LBB0_6:                                ;   in Loop: Header=BB0_2 Depth=1
	s_or_b64 exec, exec, s[0:1]
	v_mul_lo_u32 v4, v8, s18
	v_mul_lo_u32 v12, v7, s19
	v_mad_u64_u32 v[10:11], s[0:1], v7, s18, 0
	s_load_dwordx2 s[0:1], s[6:7], 0x0
	s_add_u32 s16, s16, 1
	v_add3_u32 v4, v11, v12, v4
	v_sub_co_u32_e32 v5, vcc, v5, v10
	v_subb_co_u32_e32 v4, vcc, v6, v4, vcc
	s_waitcnt lgkmcnt(0)
	v_mul_lo_u32 v4, s0, v4
	v_mul_lo_u32 v6, s1, v5
	v_mad_u64_u32 v[1:2], s[0:1], s0, v5, v[1:2]
	s_addc_u32 s17, s17, 0
	s_add_u32 s6, s6, 8
	v_add3_u32 v2, v6, v2, v4
	v_mov_b32_e32 v4, s10
	v_mov_b32_e32 v5, s11
	s_addc_u32 s7, s7, 0
	v_cmp_ge_u64_e32 vcc, s[16:17], v[4:5]
	s_add_u32 s14, s14, 8
	s_addc_u32 s15, s15, 0
	s_cbranch_vccnz .LBB0_9
; %bb.7:                                ;   in Loop: Header=BB0_2 Depth=1
	v_mov_b32_e32 v5, v7
	v_mov_b32_e32 v6, v8
	s_branch .LBB0_2
.LBB0_8:
	v_mov_b32_e32 v8, v6
	v_mov_b32_e32 v7, v5
.LBB0_9:
	s_lshl_b64 s[0:1], s[10:11], 3
	s_add_u32 s0, s12, s0
	s_addc_u32 s1, s13, s1
	s_load_dwordx2 s[6:7], s[0:1], 0x0
	s_load_dwordx2 s[10:11], s[4:5], 0x20
	v_and_b32_e32 v5, 1, v9
	v_mov_b32_e32 v6, 0x371
	v_cmp_eq_u32_e32 vcc, 1, v5
	s_waitcnt lgkmcnt(0)
	v_mul_lo_u32 v3, s6, v8
	v_mul_lo_u32 v4, s7, v7
	v_mad_u64_u32 v[1:2], s[0:1], s6, v7, v[1:2]
	s_mov_b32 s0, 0x2e8ba2f
	v_cndmask_b32_e32 v95, 0, v6, vcc
	v_add3_u32 v2, v4, v2, v3
	v_mul_hi_u32 v3, v0, s0
	v_cmp_gt_u64_e64 s[0:1], s[10:11], v[7:8]
	v_lshlrev_b64 v[46:47], 4, v[1:2]
	v_lshlrev_b32_e32 v98, 4, v95
	v_mul_u32_u24_e32 v3, 0x58, v3
	v_sub_u32_e32 v44, v0, v3
	s_and_saveexec_b64 s[4:5], s[0:1]
	s_cbranch_execz .LBB0_13
; %bb.10:
	v_mov_b32_e32 v45, 0
	v_mov_b32_e32 v0, s3
	v_add_co_u32_e32 v1, vcc, s2, v46
	v_lshlrev_b64 v[2:3], 4, v[44:45]
	v_addc_co_u32_e32 v0, vcc, v0, v47, vcc
	v_add_co_u32_e32 v19, vcc, v1, v2
	v_addc_co_u32_e32 v20, vcc, v0, v3, vcc
	s_movk_i32 s6, 0x1000
	v_add_co_u32_e32 v48, vcc, s6, v19
	v_addc_co_u32_e32 v49, vcc, 0, v20, vcc
	s_movk_i32 s6, 0x2000
	v_add_co_u32_e32 v50, vcc, s6, v19
	v_addc_co_u32_e32 v51, vcc, 0, v20, vcc
	v_add_co_u32_e32 v52, vcc, 0x3000, v19
	global_load_dwordx4 v[3:6], v[19:20], off
	global_load_dwordx4 v[7:10], v[19:20], off offset:1408
	global_load_dwordx4 v[11:14], v[19:20], off offset:2816
	;; [unrolled: 1-line block ×3, first 2 shown]
	v_addc_co_u32_e32 v53, vcc, 0, v20, vcc
	global_load_dwordx4 v[19:22], v[48:49], off offset:1536
	global_load_dwordx4 v[23:26], v[48:49], off offset:2944
	;; [unrolled: 1-line block ×6, first 2 shown]
	v_lshlrev_b32_e32 v2, 4, v44
	s_movk_i32 s6, 0x57
	v_add3_u32 v2, 0, v98, v2
	v_cmp_eq_u32_e32 vcc, s6, v44
	s_waitcnt vmcnt(9)
	ds_write_b128 v2, v[3:6]
	s_waitcnt vmcnt(8)
	ds_write_b128 v2, v[7:10] offset:1408
	s_waitcnt vmcnt(7)
	ds_write_b128 v2, v[11:14] offset:2816
	;; [unrolled: 2-line block ×9, first 2 shown]
	s_and_saveexec_b64 s[6:7], vcc
	s_cbranch_execz .LBB0_12
; %bb.11:
	v_add_co_u32_e32 v3, vcc, 0x3000, v1
	v_addc_co_u32_e32 v4, vcc, 0, v0, vcc
	global_load_dwordx4 v[3:6], v[3:4], off offset:1792
	v_mov_b32_e32 v44, 0x57
	s_waitcnt vmcnt(0)
	ds_write_b128 v2, v[3:6] offset:12688
.LBB0_12:
	s_or_b64 exec, exec, s[6:7]
.LBB0_13:
	s_or_b64 exec, exec, s[4:5]
	v_lshl_add_u32 v94, v95, 4, 0
	v_lshlrev_b32_e32 v97, 4, v44
	v_add_u32_e32 v96, v94, v97
	s_waitcnt lgkmcnt(0)
	s_barrier
	v_sub_u32_e32 v10, v94, v97
	ds_read_b64 v[6:7], v96
	ds_read_b64 v[8:9], v10 offset:14080
	s_add_u32 s6, s8, 0x36e0
	s_addc_u32 s7, s9, 0
	v_cmp_ne_u32_e32 vcc, 0, v44
                                        ; implicit-def: $vgpr4_vgpr5
	s_waitcnt lgkmcnt(0)
	v_add_f64 v[0:1], v[6:7], v[8:9]
	v_add_f64 v[2:3], v[6:7], -v[8:9]
	s_and_saveexec_b64 s[4:5], vcc
	s_xor_b64 s[4:5], exec, s[4:5]
	s_cbranch_execz .LBB0_15
; %bb.14:
	v_mov_b32_e32 v45, 0
	v_lshlrev_b64 v[0:1], 4, v[44:45]
	v_mov_b32_e32 v2, s7
	v_add_co_u32_e32 v0, vcc, s6, v0
	v_addc_co_u32_e32 v1, vcc, v2, v1, vcc
	global_load_dwordx4 v[2:5], v[0:1], off
	ds_read_b64 v[0:1], v10 offset:14088
	ds_read_b64 v[11:12], v96 offset:8
	v_add_f64 v[13:14], v[6:7], v[8:9]
	v_add_f64 v[8:9], v[6:7], -v[8:9]
	s_waitcnt lgkmcnt(0)
	v_add_f64 v[15:16], v[0:1], v[11:12]
	v_add_f64 v[0:1], v[11:12], -v[0:1]
	s_waitcnt vmcnt(0)
	v_fma_f64 v[6:7], -v[8:9], v[4:5], v[13:14]
	v_fma_f64 v[11:12], v[15:16], v[4:5], -v[0:1]
	v_fma_f64 v[13:14], v[8:9], v[4:5], v[13:14]
	v_fma_f64 v[17:18], v[15:16], v[4:5], v[0:1]
	;; [unrolled: 1-line block ×4, first 2 shown]
	v_fma_f64 v[0:1], -v[15:16], v[2:3], v[13:14]
	v_fma_f64 v[2:3], v[8:9], v[2:3], v[17:18]
	ds_write_b128 v10, v[4:7] offset:14080
	v_mov_b32_e32 v4, v44
	v_mov_b32_e32 v5, v45
.LBB0_15:
	s_andn2_saveexec_b64 s[4:5], s[4:5]
	s_cbranch_execz .LBB0_17
; %bb.16:
	ds_read_b128 v[4:7], v94 offset:7040
	s_waitcnt lgkmcnt(0)
	v_add_f64 v[11:12], v[4:5], v[4:5]
	v_mul_f64 v[13:14], v[6:7], -2.0
	v_mov_b32_e32 v4, 0
	v_mov_b32_e32 v5, 0
	ds_write_b128 v94, v[11:14] offset:7040
.LBB0_17:
	s_or_b64 exec, exec, s[4:5]
	v_lshlrev_b64 v[4:5], 4, v[4:5]
	v_mov_b32_e32 v6, s7
	v_add_co_u32_e32 v8, vcc, s6, v4
	v_addc_co_u32_e32 v9, vcc, v6, v5, vcc
	global_load_dwordx4 v[4:7], v[8:9], off offset:1408
	global_load_dwordx4 v[11:14], v[8:9], off offset:2816
	s_movk_i32 s4, 0x1000
	v_add_co_u32_e32 v23, vcc, s4, v8
	ds_write_b128 v96, v[0:3]
	v_addc_co_u32_e32 v24, vcc, 0, v9, vcc
	ds_read_b128 v[0:3], v96 offset:1408
	ds_read_b128 v[15:18], v10 offset:12672
	global_load_dwordx4 v[19:22], v[23:24], off offset:128
	v_add_u32_e32 v99, 0x58, v44
	v_add_u32_e32 v40, 0xb0, v44
	;; [unrolled: 1-line block ×3, first 2 shown]
	s_waitcnt lgkmcnt(0)
	v_add_f64 v[8:9], v[0:1], v[15:16]
	v_add_f64 v[25:26], v[17:18], v[2:3]
	v_add_f64 v[15:16], v[0:1], -v[15:16]
	v_add_f64 v[0:1], v[2:3], -v[17:18]
	v_add_u32_e32 v42, 0x160, v44
	v_and_b32_e32 v43, 1, v44
	v_lshlrev_b32_e32 v48, 4, v43
	s_movk_i32 s4, 0xfc
	s_movk_i32 s5, 0x1fc
	;; [unrolled: 1-line block ×3, first 2 shown]
	v_and_b32_e32 v72, 3, v44
	v_lshlrev_b32_e32 v73, 4, v72
	s_movk_i32 s7, 0x50
	v_cmp_gt_u32_e32 vcc, s7, v44
	s_waitcnt vmcnt(2)
	v_fma_f64 v[2:3], v[15:16], v[6:7], v[8:9]
	v_fma_f64 v[17:18], v[25:26], v[6:7], v[0:1]
	v_fma_f64 v[8:9], -v[15:16], v[6:7], v[8:9]
	v_fma_f64 v[27:28], v[25:26], v[6:7], -v[0:1]
	v_fma_f64 v[0:1], -v[25:26], v[4:5], v[2:3]
	v_fma_f64 v[2:3], v[15:16], v[4:5], v[17:18]
	v_fma_f64 v[6:7], v[25:26], v[4:5], v[8:9]
	;; [unrolled: 1-line block ×3, first 2 shown]
	ds_write_b128 v96, v[0:3] offset:1408
	ds_write_b128 v10, v[6:9] offset:12672
	ds_read_b128 v[0:3], v96 offset:2816
	ds_read_b128 v[4:7], v10 offset:11264
	global_load_dwordx4 v[15:18], v[23:24], off offset:1536
	s_waitcnt lgkmcnt(0)
	v_add_f64 v[8:9], v[0:1], v[4:5]
	v_add_f64 v[23:24], v[6:7], v[2:3]
	v_add_f64 v[25:26], v[0:1], -v[4:5]
	v_add_f64 v[0:1], v[2:3], -v[6:7]
	s_waitcnt vmcnt(2)
	v_fma_f64 v[2:3], v[25:26], v[13:14], v[8:9]
	v_fma_f64 v[4:5], v[23:24], v[13:14], v[0:1]
	v_fma_f64 v[6:7], -v[25:26], v[13:14], v[8:9]
	v_fma_f64 v[8:9], v[23:24], v[13:14], -v[0:1]
	v_fma_f64 v[0:1], -v[23:24], v[11:12], v[2:3]
	v_fma_f64 v[2:3], v[25:26], v[11:12], v[4:5]
	v_fma_f64 v[4:5], v[23:24], v[11:12], v[6:7]
	;; [unrolled: 1-line block ×3, first 2 shown]
	ds_write_b128 v96, v[0:3] offset:2816
	ds_write_b128 v10, v[4:7] offset:11264
	ds_read_b128 v[0:3], v96 offset:4224
	ds_read_b128 v[4:7], v10 offset:9856
	s_waitcnt lgkmcnt(0)
	v_add_f64 v[8:9], v[0:1], v[4:5]
	v_add_f64 v[11:12], v[6:7], v[2:3]
	v_add_f64 v[13:14], v[0:1], -v[4:5]
	v_add_f64 v[0:1], v[2:3], -v[6:7]
	s_waitcnt vmcnt(1)
	v_fma_f64 v[2:3], v[13:14], v[21:22], v[8:9]
	v_fma_f64 v[4:5], v[11:12], v[21:22], v[0:1]
	v_fma_f64 v[6:7], -v[13:14], v[21:22], v[8:9]
	v_fma_f64 v[8:9], v[11:12], v[21:22], -v[0:1]
	v_fma_f64 v[0:1], -v[11:12], v[19:20], v[2:3]
	v_fma_f64 v[2:3], v[13:14], v[19:20], v[4:5]
	v_fma_f64 v[4:5], v[11:12], v[19:20], v[6:7]
	;; [unrolled: 1-line block ×3, first 2 shown]
	ds_write_b128 v96, v[0:3] offset:4224
	ds_write_b128 v10, v[4:7] offset:9856
	ds_read_b128 v[0:3], v96 offset:5632
	ds_read_b128 v[4:7], v10 offset:8448
	v_add_u32_e32 v19, 0, v97
	v_add_u32_e32 v45, v19, v98
	;; [unrolled: 1-line block ×3, first 2 shown]
	v_lshlrev_b32_e32 v19, 5, v41
	s_waitcnt lgkmcnt(0)
	v_add_f64 v[8:9], v[0:1], v[4:5]
	v_add_f64 v[11:12], v[6:7], v[2:3]
	v_add_f64 v[13:14], v[0:1], -v[4:5]
	v_add_f64 v[0:1], v[2:3], -v[6:7]
	v_lshlrev_b32_e32 v20, 5, v42
	v_add3_u32 v52, 0, v19, v98
	v_add3_u32 v53, 0, v20, v98
	v_add_u32_e32 v49, v100, v98
	s_waitcnt vmcnt(0)
	v_fma_f64 v[2:3], v[13:14], v[17:18], v[8:9]
	v_fma_f64 v[4:5], v[11:12], v[17:18], v[0:1]
	v_fma_f64 v[6:7], -v[13:14], v[17:18], v[8:9]
	v_fma_f64 v[8:9], v[11:12], v[17:18], -v[0:1]
	v_lshlrev_b32_e32 v17, 5, v99
	v_lshlrev_b32_e32 v18, 5, v40
	v_add3_u32 v50, 0, v17, v98
	v_add3_u32 v51, 0, v18, v98
	v_fma_f64 v[0:1], -v[11:12], v[15:16], v[2:3]
	v_fma_f64 v[2:3], v[13:14], v[15:16], v[4:5]
	v_fma_f64 v[4:5], v[11:12], v[15:16], v[6:7]
	;; [unrolled: 1-line block ×3, first 2 shown]
	ds_write_b128 v96, v[0:3] offset:5632
	ds_write_b128 v10, v[4:7] offset:8448
	s_waitcnt lgkmcnt(0)
	s_barrier
	s_barrier
	ds_read_b128 v[0:3], v96
	ds_read_b128 v[4:7], v45 offset:1408
	ds_read_b128 v[8:11], v45 offset:7040
	;; [unrolled: 1-line block ×9, first 2 shown]
	s_waitcnt lgkmcnt(7)
	v_add_f64 v[8:9], v[0:1], -v[8:9]
	v_add_f64 v[10:11], v[2:3], -v[10:11]
	s_waitcnt lgkmcnt(5)
	v_add_f64 v[16:17], v[4:5], -v[16:17]
	v_add_f64 v[18:19], v[6:7], -v[18:19]
	;; [unrolled: 3-line block ×5, first 2 shown]
	v_fma_f64 v[0:1], v[0:1], 2.0, -v[8:9]
	v_fma_f64 v[2:3], v[2:3], 2.0, -v[10:11]
	;; [unrolled: 1-line block ×4, first 2 shown]
	s_barrier
	ds_write_b128 v49, v[8:11] offset:16
	v_fma_f64 v[8:9], v[24:25], 2.0, -v[20:21]
	v_fma_f64 v[10:11], v[26:27], 2.0, -v[22:23]
	ds_write_b128 v50, v[16:19] offset:16
	v_fma_f64 v[16:17], v[28:29], 2.0, -v[32:33]
	v_fma_f64 v[18:19], v[30:31], 2.0, -v[34:35]
	;; [unrolled: 1-line block ×4, first 2 shown]
	ds_write_b128 v51, v[20:23] offset:16
	ds_write_b128 v52, v[32:35] offset:16
	;; [unrolled: 1-line block ×3, first 2 shown]
	ds_write_b128 v49, v[0:3]
	ds_write_b128 v50, v[4:7]
	;; [unrolled: 1-line block ×5, first 2 shown]
	s_waitcnt lgkmcnt(0)
	s_barrier
	global_load_dwordx4 v[5:8], v48, s[8:9]
	v_lshlrev_b32_e32 v0, 1, v44
	v_and_or_b32 v9, v0, s4, v43
	v_lshlrev_b32_e32 v1, 1, v99
	v_lshlrev_b32_e32 v2, 1, v40
	;; [unrolled: 1-line block ×5, first 2 shown]
	v_and_or_b32 v10, v1, s5, v43
	v_and_or_b32 v11, v2, s6, v43
	;; [unrolled: 1-line block ×4, first 2 shown]
	v_add3_u32 v43, 0, v9, v98
	v_lshlrev_b32_e32 v9, 4, v10
	v_lshlrev_b32_e32 v10, 4, v11
	;; [unrolled: 1-line block ×4, first 2 shown]
	v_add3_u32 v74, 0, v9, v98
	v_add3_u32 v75, 0, v10, v98
	;; [unrolled: 1-line block ×4, first 2 shown]
	ds_read_b128 v[9:12], v45 offset:7040
	ds_read_b128 v[13:16], v45 offset:5632
	ds_read_b128 v[17:20], v45 offset:8448
	ds_read_b128 v[21:24], v45 offset:9856
	ds_read_b128 v[25:28], v45 offset:11264
	ds_read_b128 v[29:32], v45 offset:12672
	ds_read_b128 v[33:36], v96
	ds_read_b128 v[37:40], v45 offset:1408
	ds_read_b128 v[48:51], v45 offset:2816
	;; [unrolled: 1-line block ×3, first 2 shown]
	s_waitcnt vmcnt(0) lgkmcnt(0)
	s_barrier
	s_movk_i32 s4, 0xf8
	s_movk_i32 s5, 0x1f8
	;; [unrolled: 1-line block ×3, first 2 shown]
	v_mul_f64 v[41:42], v[11:12], v[7:8]
	v_mul_f64 v[56:57], v[9:10], v[7:8]
	;; [unrolled: 1-line block ×10, first 2 shown]
	v_fma_f64 v[9:10], v[9:10], v[5:6], v[41:42]
	v_fma_f64 v[11:12], v[11:12], v[5:6], -v[56:57]
	v_fma_f64 v[17:18], v[17:18], v[5:6], v[58:59]
	v_fma_f64 v[19:20], v[19:20], v[5:6], -v[60:61]
	;; [unrolled: 2-line block ×5, first 2 shown]
	v_add_f64 v[5:6], v[33:34], -v[9:10]
	v_add_f64 v[7:8], v[35:36], -v[11:12]
	;; [unrolled: 1-line block ×10, first 2 shown]
	v_fma_f64 v[29:30], v[33:34], 2.0, -v[5:6]
	v_fma_f64 v[31:32], v[35:36], 2.0, -v[7:8]
	ds_write_b128 v43, v[5:8] offset:32
	v_fma_f64 v[5:6], v[37:38], 2.0, -v[9:10]
	v_fma_f64 v[7:8], v[39:40], 2.0, -v[11:12]
	;; [unrolled: 1-line block ×8, first 2 shown]
	ds_write_b128 v43, v[29:32]
	ds_write_b128 v74, v[5:8]
	ds_write_b128 v74, v[9:12] offset:32
	ds_write_b128 v75, v[33:36]
	ds_write_b128 v75, v[17:20] offset:32
	;; [unrolled: 2-line block ×4, first 2 shown]
	s_waitcnt lgkmcnt(0)
	s_barrier
	global_load_dwordx4 v[5:8], v73, s[8:9] offset:32
	v_and_or_b32 v9, v0, s4, v72
	v_lshlrev_b32_e32 v9, 4, v9
	v_and_or_b32 v10, v1, s5, v72
	v_and_or_b32 v11, v2, s6, v72
	;; [unrolled: 1-line block ×4, first 2 shown]
	v_add3_u32 v72, 0, v9, v98
	v_lshlrev_b32_e32 v9, 4, v10
	v_lshlrev_b32_e32 v10, 4, v11
	;; [unrolled: 1-line block ×4, first 2 shown]
	v_add3_u32 v74, 0, v9, v98
	v_add3_u32 v75, 0, v10, v98
	;; [unrolled: 1-line block ×4, first 2 shown]
	ds_read_b128 v[9:12], v45 offset:7040
	ds_read_b128 v[13:16], v45 offset:5632
	;; [unrolled: 1-line block ×6, first 2 shown]
	ds_read_b128 v[33:36], v96
	ds_read_b128 v[37:40], v45 offset:1408
	ds_read_b128 v[48:51], v45 offset:2816
	;; [unrolled: 1-line block ×3, first 2 shown]
	s_waitcnt vmcnt(0) lgkmcnt(0)
	s_barrier
	v_and_b32_e32 v43, 7, v44
	v_lshlrev_b32_e32 v73, 4, v43
	s_movk_i32 s4, 0xf0
	s_movk_i32 s5, 0x1f0
	;; [unrolled: 1-line block ×3, first 2 shown]
	v_and_or_b32 v0, v0, s4, v43
	v_and_or_b32 v1, v1, s5, v43
	;; [unrolled: 1-line block ×5, first 2 shown]
	v_lshlrev_b32_e32 v0, 4, v0
	v_mul_f64 v[41:42], v[11:12], v[7:8]
	v_mul_f64 v[56:57], v[9:10], v[7:8]
	;; [unrolled: 1-line block ×10, first 2 shown]
	v_fma_f64 v[9:10], v[9:10], v[5:6], v[41:42]
	v_fma_f64 v[11:12], v[11:12], v[5:6], -v[56:57]
	v_fma_f64 v[17:18], v[17:18], v[5:6], v[58:59]
	v_fma_f64 v[19:20], v[19:20], v[5:6], -v[60:61]
	;; [unrolled: 2-line block ×5, first 2 shown]
	v_add_f64 v[5:6], v[33:34], -v[9:10]
	v_add_f64 v[7:8], v[35:36], -v[11:12]
	v_add_f64 v[9:10], v[37:38], -v[17:18]
	v_add_f64 v[11:12], v[39:40], -v[19:20]
	v_add_f64 v[17:18], v[48:49], -v[21:22]
	v_add_f64 v[19:20], v[50:51], -v[23:24]
	v_add_f64 v[21:22], v[52:53], -v[25:26]
	v_add_f64 v[23:24], v[54:55], -v[27:28]
	v_add_f64 v[25:26], v[13:14], -v[29:30]
	v_add_f64 v[27:28], v[15:16], -v[31:32]
	v_fma_f64 v[29:30], v[33:34], 2.0, -v[5:6]
	v_fma_f64 v[31:32], v[35:36], 2.0, -v[7:8]
	ds_write_b128 v72, v[5:8] offset:64
	v_fma_f64 v[5:6], v[37:38], 2.0, -v[9:10]
	v_fma_f64 v[7:8], v[39:40], 2.0, -v[11:12]
	;; [unrolled: 1-line block ×8, first 2 shown]
	ds_write_b128 v72, v[29:32]
	ds_write_b128 v74, v[5:8]
	ds_write_b128 v74, v[9:12] offset:64
	ds_write_b128 v75, v[33:36]
	ds_write_b128 v75, v[17:20] offset:64
	;; [unrolled: 2-line block ×4, first 2 shown]
	s_waitcnt lgkmcnt(0)
	s_barrier
	global_load_dwordx4 v[5:8], v73, s[8:9] offset:96
	v_add3_u32 v68, 0, v0, v98
	v_lshlrev_b32_e32 v0, 4, v1
	v_lshlrev_b32_e32 v1, 4, v2
	;; [unrolled: 1-line block ×4, first 2 shown]
	v_add3_u32 v69, 0, v0, v98
	v_add3_u32 v70, 0, v1, v98
	;; [unrolled: 1-line block ×4, first 2 shown]
	ds_read_b128 v[0:3], v45 offset:7040
	ds_read_b128 v[32:35], v45 offset:5632
	;; [unrolled: 1-line block ×6, first 2 shown]
	ds_read_b128 v[28:31], v96
	ds_read_b128 v[40:43], v45 offset:1408
	ds_read_b128 v[48:51], v45 offset:2816
	;; [unrolled: 1-line block ×3, first 2 shown]
	s_waitcnt vmcnt(0) lgkmcnt(0)
	s_barrier
	v_mul_f64 v[25:26], v[2:3], v[7:8]
	v_mul_f64 v[36:37], v[0:1], v[7:8]
	;; [unrolled: 1-line block ×10, first 2 shown]
	v_fma_f64 v[0:1], v[0:1], v[5:6], v[25:26]
	v_fma_f64 v[2:3], v[2:3], v[5:6], -v[36:37]
	v_fma_f64 v[9:10], v[9:10], v[5:6], v[38:39]
	v_fma_f64 v[11:12], v[11:12], v[5:6], -v[56:57]
	;; [unrolled: 2-line block ×5, first 2 shown]
	v_add_f64 v[4:5], v[28:29], -v[0:1]
	v_add_f64 v[6:7], v[30:31], -v[2:3]
	;; [unrolled: 1-line block ×10, first 2 shown]
	v_fma_f64 v[0:1], v[28:29], 2.0, -v[4:5]
	v_fma_f64 v[2:3], v[30:31], 2.0, -v[6:7]
	;; [unrolled: 1-line block ×10, first 2 shown]
	ds_write_b128 v68, v[4:7] offset:128
	ds_write_b128 v68, v[0:3]
	ds_write_b128 v69, v[12:15]
	ds_write_b128 v69, v[8:11] offset:128
	ds_write_b128 v70, v[16:19]
	ds_write_b128 v70, v[20:23] offset:128
	;; [unrolled: 2-line block ×4, first 2 shown]
	s_waitcnt lgkmcnt(0)
	s_barrier
	s_waitcnt lgkmcnt(0)
                                        ; implicit-def: $vgpr42_vgpr43
	s_and_saveexec_b64 s[4:5], vcc
	s_cbranch_execz .LBB0_19
; %bb.18:
	ds_read_b128 v[0:3], v96
	ds_read_b128 v[4:7], v45 offset:1280
	ds_read_b128 v[12:15], v45 offset:2560
	;; [unrolled: 1-line block ×10, first 2 shown]
.LBB0_19:
	s_or_b64 exec, exec, s[4:5]
	s_waitcnt lgkmcnt(0)
	s_barrier
	s_and_saveexec_b64 s[4:5], vcc
	s_cbranch_execz .LBB0_21
; %bb.20:
	v_and_b32_e32 v101, 15, v44
	v_mul_u32_u24_e32 v48, 10, v101
	v_lshlrev_b32_e32 v48, 4, v48
	global_load_dwordx4 v[50:53], v48, s[8:9] offset:288
	global_load_dwordx4 v[54:57], v48, s[8:9] offset:304
	;; [unrolled: 1-line block ×10, first 2 shown]
	s_mov_b32 s10, 0xfd768dbf
	s_mov_b32 s11, 0xbfd207e7
	;; [unrolled: 1-line block ×26, first 2 shown]
	s_waitcnt vmcnt(9)
	v_mul_f64 v[48:49], v[22:23], v[52:53]
	v_mul_f64 v[52:53], v[20:21], v[52:53]
	s_waitcnt vmcnt(8)
	v_mul_f64 v[62:63], v[30:31], v[56:57]
	s_waitcnt vmcnt(6)
	v_mul_f64 v[74:75], v[26:27], v[66:67]
	v_mul_f64 v[56:57], v[28:29], v[56:57]
	v_mul_f64 v[68:69], v[18:19], v[60:61]
	s_waitcnt vmcnt(3)
	v_mul_f64 v[86:87], v[14:15], v[84:85]
	v_mul_f64 v[84:85], v[12:13], v[84:85]
	s_waitcnt vmcnt(2)
	v_mul_f64 v[92:93], v[6:7], v[90:91]
	v_mul_f64 v[90:91], v[4:5], v[90:91]
	;; [unrolled: 3-line block ×3, first 2 shown]
	v_mul_f64 v[60:61], v[16:17], v[60:61]
	s_waitcnt vmcnt(0)
	v_mul_f64 v[114:115], v[38:39], v[108:109]
	v_mul_f64 v[108:109], v[36:37], v[108:109]
	v_fma_f64 v[48:49], v[20:21], v[50:51], v[48:49]
	v_fma_f64 v[50:51], v[22:23], v[50:51], -v[52:53]
	v_fma_f64 v[22:23], v[24:25], v[64:65], v[74:75]
	v_fma_f64 v[74:75], v[12:13], v[82:83], v[86:87]
	v_fma_f64 v[82:83], v[14:15], v[82:83], -v[84:85]
	v_fma_f64 v[86:87], v[4:5], v[88:89], v[92:93]
	v_fma_f64 v[92:93], v[6:7], v[88:89], -v[90:91]
	v_fma_f64 v[12:13], v[40:41], v[102:103], v[112:113]
	v_fma_f64 v[14:15], v[42:43], v[102:103], -v[104:105]
	v_mul_f64 v[76:77], v[10:11], v[72:73]
	v_mul_f64 v[72:73], v[8:9], v[72:73]
	v_mul_f64 v[110:111], v[34:35], v[80:81]
	v_mul_f64 v[80:81], v[32:33], v[80:81]
	v_fma_f64 v[28:29], v[28:29], v[54:55], v[62:63]
	v_fma_f64 v[30:31], v[30:31], v[54:55], -v[56:57]
	v_fma_f64 v[56:57], v[16:17], v[58:59], v[68:69]
	v_fma_f64 v[62:63], v[18:19], v[58:59], -v[60:61]
	;; [unrolled: 2-line block ×3, first 2 shown]
	v_add_f64 v[118:119], v[86:87], -v[12:13]
	v_add_f64 v[88:89], v[92:93], -v[14:15]
	v_mul_f64 v[66:67], v[24:25], v[66:67]
	v_fma_f64 v[68:69], v[8:9], v[70:71], v[76:77]
	v_fma_f64 v[76:77], v[10:11], v[70:71], -v[72:73]
	v_fma_f64 v[20:21], v[32:33], v[78:79], v[110:111]
	v_fma_f64 v[24:25], v[34:35], v[78:79], -v[80:81]
	v_add_f64 v[78:79], v[92:93], v[14:15]
	v_add_f64 v[90:91], v[74:75], -v[16:17]
	v_add_f64 v[80:81], v[86:87], v[12:13]
	v_add_f64 v[70:71], v[82:83], -v[18:19]
	v_mul_f64 v[4:5], v[118:119], s[10:11]
	v_mul_f64 v[6:7], v[88:89], s[10:11]
	v_fma_f64 v[26:27], v[26:27], v[64:65], -v[66:67]
	v_add_f64 v[60:61], v[82:83], v[18:19]
	v_add_f64 v[54:55], v[74:75], v[16:17]
	v_add_f64 v[84:85], v[68:69], -v[20:21]
	v_add_f64 v[66:67], v[76:77], -v[24:25]
	v_mul_f64 v[8:9], v[90:91], s[26:27]
	v_mul_f64 v[10:11], v[70:71], s[26:27]
	v_fma_f64 v[126:127], v[78:79], s[6:7], v[4:5]
	v_fma_f64 v[128:129], v[80:81], s[6:7], -v[6:7]
	v_add_f64 v[64:65], v[76:77], v[24:25]
	v_add_f64 v[52:53], v[68:69], v[20:21]
	v_add_f64 v[42:43], v[62:63], -v[26:27]
	v_mul_f64 v[102:103], v[84:85], s[14:15]
	v_mul_f64 v[104:105], v[66:67], s[14:15]
	v_fma_f64 v[4:5], v[78:79], s[6:7], -v[4:5]
	v_fma_f64 v[130:131], v[60:61], s[16:17], v[8:9]
	v_fma_f64 v[6:7], v[80:81], s[6:7], v[6:7]
	v_fma_f64 v[132:133], v[54:55], s[16:17], -v[10:11]
	v_add_f64 v[126:127], v[2:3], v[126:127]
	v_add_f64 v[128:129], v[0:1], v[128:129]
	v_add_f64 v[72:73], v[56:57], -v[22:23]
	v_add_f64 v[32:33], v[56:57], v[22:23]
	v_add_f64 v[38:39], v[50:51], -v[30:31]
	v_mul_f64 v[112:113], v[42:43], s[24:25]
	v_fma_f64 v[8:9], v[60:61], s[16:17], -v[8:9]
	v_fma_f64 v[10:11], v[54:55], s[16:17], v[10:11]
	v_fma_f64 v[138:139], v[64:65], s[12:13], v[102:103]
	v_add_f64 v[4:5], v[2:3], v[4:5]
	v_fma_f64 v[140:141], v[52:53], s[12:13], -v[104:105]
	v_add_f64 v[6:7], v[0:1], v[6:7]
	v_add_f64 v[126:127], v[130:131], v[126:127]
	;; [unrolled: 1-line block ×4, first 2 shown]
	v_add_f64 v[58:59], v[48:49], -v[28:29]
	v_add_f64 v[36:37], v[48:49], v[28:29]
	v_mul_f64 v[106:107], v[72:73], s[24:25]
	v_mul_f64 v[108:109], v[118:119], s[14:15]
	;; [unrolled: 1-line block ×4, first 2 shown]
	v_fma_f64 v[102:103], v[64:65], s[12:13], -v[102:103]
	v_fma_f64 v[104:105], v[52:53], s[12:13], v[104:105]
	v_add_f64 v[4:5], v[8:9], v[4:5]
	v_fma_f64 v[8:9], v[32:33], s[18:19], -v[112:113]
	v_add_f64 v[6:7], v[10:11], v[6:7]
	v_add_f64 v[10:11], v[138:139], v[126:127]
	;; [unrolled: 1-line block ×4, first 2 shown]
	v_mul_f64 v[110:111], v[90:91], s[30:31]
	v_mul_f64 v[114:115], v[58:59], s[22:23]
	;; [unrolled: 1-line block ×3, first 2 shown]
	v_fma_f64 v[134:135], v[78:79], s[12:13], v[108:109]
	v_fma_f64 v[130:131], v[40:41], s[18:19], v[106:107]
	v_fma_f64 v[106:107], v[40:41], s[18:19], -v[106:107]
	v_add_f64 v[4:5], v[102:103], v[4:5]
	v_fma_f64 v[128:129], v[80:81], s[12:13], -v[122:123]
	v_add_f64 v[6:7], v[104:105], v[6:7]
	v_add_f64 v[8:9], v[8:9], v[126:127]
	v_fma_f64 v[104:105], v[36:37], s[20:21], -v[116:117]
	v_fma_f64 v[108:109], v[78:79], s[12:13], -v[108:109]
	v_mul_f64 v[120:121], v[84:85], s[28:29]
	v_fma_f64 v[136:137], v[60:61], s[20:21], v[110:111]
	v_add_f64 v[132:133], v[2:3], v[134:135]
	v_fma_f64 v[112:113], v[32:33], s[18:19], v[112:113]
	v_fma_f64 v[102:103], v[34:35], s[20:21], v[114:115]
	v_add_f64 v[10:11], v[130:131], v[10:11]
	v_add_f64 v[106:107], v[106:107], v[4:5]
	v_fma_f64 v[114:115], v[34:35], s[20:21], -v[114:115]
	v_add_f64 v[128:129], v[0:1], v[128:129]
	v_fma_f64 v[130:131], v[54:55], s[20:21], -v[124:125]
	v_mul_f64 v[134:135], v[66:67], s[28:29]
	v_add_f64 v[4:5], v[104:105], v[8:9]
	v_fma_f64 v[8:9], v[80:81], s[12:13], v[122:123]
	v_fma_f64 v[110:111], v[60:61], s[20:21], -v[110:111]
	v_add_f64 v[108:109], v[2:3], v[108:109]
	v_add_f64 v[132:133], v[136:137], v[132:133]
	v_mul_f64 v[126:127], v[72:73], s[10:11]
	v_add_f64 v[112:113], v[112:113], v[6:7]
	v_fma_f64 v[136:137], v[64:65], s[16:17], v[120:121]
	v_add_f64 v[6:7], v[102:103], v[10:11]
	v_add_f64 v[102:103], v[130:131], v[128:129]
	v_fma_f64 v[104:105], v[52:53], s[16:17], -v[134:135]
	v_mul_f64 v[122:123], v[42:43], s[10:11]
	v_add_f64 v[10:11], v[114:115], v[106:107]
	v_fma_f64 v[106:107], v[54:55], s[20:21], v[124:125]
	v_add_f64 v[8:9], v[0:1], v[8:9]
	v_add_f64 v[108:109], v[110:111], v[108:109]
	v_fma_f64 v[110:111], v[64:65], s[16:17], -v[120:121]
	v_fma_f64 v[116:117], v[36:37], s[20:21], v[116:117]
	v_add_f64 v[114:115], v[136:137], v[132:133]
	v_fma_f64 v[124:125], v[40:41], s[6:7], v[126:127]
	v_add_f64 v[102:103], v[104:105], v[102:103]
	v_fma_f64 v[104:105], v[32:33], s[6:7], -v[122:123]
	v_mul_f64 v[120:121], v[58:59], s[24:25]
	v_add_f64 v[106:107], v[106:107], v[8:9]
	v_fma_f64 v[128:129], v[52:53], s[16:17], v[134:135]
	v_add_f64 v[108:109], v[110:111], v[108:109]
	v_mul_f64 v[110:111], v[118:119], s[22:23]
	v_add_f64 v[8:9], v[116:117], v[112:113]
	v_add_f64 v[112:113], v[124:125], v[114:115]
	;; [unrolled: 1-line block ×3, first 2 shown]
	v_fma_f64 v[104:105], v[34:35], s[18:19], v[120:121]
	v_fma_f64 v[116:117], v[40:41], s[6:7], -v[126:127]
	v_add_f64 v[106:107], v[128:129], v[106:107]
	v_mul_f64 v[124:125], v[88:89], s[22:23]
	v_fma_f64 v[122:123], v[32:33], s[6:7], v[122:123]
	v_fma_f64 v[126:127], v[78:79], s[20:21], v[110:111]
	v_mul_f64 v[128:129], v[90:91], s[34:35]
	v_mul_f64 v[114:115], v[38:39], s[24:25]
	v_add_f64 v[104:105], v[104:105], v[112:113]
	v_mul_f64 v[132:133], v[70:71], s[34:35]
	v_add_f64 v[108:109], v[116:117], v[108:109]
	v_fma_f64 v[112:113], v[80:81], s[20:21], -v[124:125]
	v_add_f64 v[106:107], v[122:123], v[106:107]
	v_add_f64 v[116:117], v[2:3], v[126:127]
	v_fma_f64 v[122:123], v[60:61], s[6:7], v[128:129]
	v_mul_f64 v[126:127], v[84:85], s[24:25]
	v_fma_f64 v[120:121], v[34:35], s[18:19], -v[120:121]
	v_fma_f64 v[130:131], v[36:37], s[18:19], -v[114:115]
	;; [unrolled: 1-line block ×3, first 2 shown]
	v_add_f64 v[112:113], v[0:1], v[112:113]
	v_mul_f64 v[136:137], v[66:67], s[24:25]
	v_fma_f64 v[114:115], v[36:37], s[18:19], v[114:115]
	v_add_f64 v[116:117], v[122:123], v[116:117]
	v_fma_f64 v[122:123], v[64:65], s[18:19], v[126:127]
	v_add_f64 v[108:109], v[120:121], v[108:109]
	v_mul_f64 v[120:121], v[72:73], s[28:29]
	v_fma_f64 v[110:111], v[78:79], s[20:21], -v[110:111]
	v_add_f64 v[102:103], v[130:131], v[102:103]
	v_add_f64 v[112:113], v[134:135], v[112:113]
	v_fma_f64 v[130:131], v[52:53], s[18:19], -v[136:137]
	v_add_f64 v[106:107], v[114:115], v[106:107]
	v_mul_f64 v[114:115], v[42:43], s[28:29]
	v_add_f64 v[116:117], v[122:123], v[116:117]
	v_fma_f64 v[122:123], v[80:81], s[20:21], v[124:125]
	v_fma_f64 v[124:125], v[40:41], s[16:17], v[120:121]
	v_mul_f64 v[134:135], v[58:59], s[14:15]
	v_fma_f64 v[128:129], v[60:61], s[6:7], -v[128:129]
	v_add_f64 v[110:111], v[2:3], v[110:111]
	s_mov_b32 s25, 0xbfed1bb4
	v_add_f64 v[112:113], v[130:131], v[112:113]
	v_fma_f64 v[130:131], v[32:33], s[16:17], -v[114:115]
	v_fma_f64 v[132:133], v[54:55], s[6:7], v[132:133]
	v_add_f64 v[122:123], v[0:1], v[122:123]
	v_add_f64 v[116:117], v[124:125], v[116:117]
	v_fma_f64 v[124:125], v[34:35], s[12:13], v[134:135]
	v_mul_f64 v[138:139], v[118:119], s[24:25]
	v_add_f64 v[110:111], v[128:129], v[110:111]
	v_fma_f64 v[126:127], v[64:65], s[18:19], -v[126:127]
	v_add_f64 v[128:129], v[130:131], v[112:113]
	v_fma_f64 v[130:131], v[52:53], s[18:19], v[136:137]
	v_add_f64 v[122:123], v[132:133], v[122:123]
	v_mul_f64 v[132:133], v[90:91], s[14:15]
	v_add_f64 v[112:113], v[124:125], v[116:117]
	v_mul_f64 v[116:117], v[38:39], s[14:15]
	v_fma_f64 v[124:125], v[78:79], s[18:19], v[138:139]
	v_add_f64 v[110:111], v[126:127], v[110:111]
	v_mul_f64 v[126:127], v[88:89], s[24:25]
	v_fma_f64 v[120:121], v[40:41], s[16:17], -v[120:121]
	v_add_f64 v[122:123], v[130:131], v[122:123]
	v_fma_f64 v[114:115], v[32:33], s[16:17], v[114:115]
	v_fma_f64 v[136:137], v[60:61], s[12:13], v[132:133]
	v_fma_f64 v[130:131], v[36:37], s[12:13], -v[116:117]
	v_add_f64 v[124:125], v[2:3], v[124:125]
	v_mul_f64 v[140:141], v[84:85], s[34:35]
	v_fma_f64 v[142:143], v[80:81], s[18:19], -v[126:127]
	v_mul_f64 v[144:145], v[70:71], s[14:15]
	v_add_f64 v[92:93], v[2:3], v[92:93]
	v_add_f64 v[86:87], v[0:1], v[86:87]
	v_add_f64 v[120:121], v[120:121], v[110:111]
	v_add_f64 v[114:115], v[114:115], v[122:123]
	v_fma_f64 v[122:123], v[34:35], s[12:13], -v[134:135]
	v_fma_f64 v[134:135], v[36:37], s[12:13], v[116:117]
	v_add_f64 v[124:125], v[136:137], v[124:125]
	v_fma_f64 v[136:137], v[64:65], s[6:7], v[140:141]
	v_add_f64 v[142:143], v[0:1], v[142:143]
	v_fma_f64 v[146:147], v[54:55], s[12:13], -v[144:145]
	v_add_f64 v[110:111], v[130:131], v[128:129]
	v_mul_f64 v[128:129], v[66:67], s[34:35]
	v_add_f64 v[82:83], v[92:93], v[82:83]
	v_add_f64 v[74:75], v[86:87], v[74:75]
	;; [unrolled: 1-line block ×5, first 2 shown]
	v_fma_f64 v[124:125], v[78:79], s[18:19], -v[138:139]
	v_add_f64 v[130:131], v[146:147], v[142:143]
	v_fma_f64 v[126:127], v[80:81], s[18:19], v[126:127]
	v_fma_f64 v[134:135], v[52:53], s[6:7], -v[128:129]
	v_mul_f64 v[136:137], v[42:43], s[30:31]
	v_add_f64 v[76:77], v[82:83], v[76:77]
	v_add_f64 v[68:69], v[74:75], v[68:69]
	v_fma_f64 v[132:133], v[60:61], s[12:13], -v[132:133]
	v_add_f64 v[124:125], v[2:3], v[124:125]
	v_fma_f64 v[144:145], v[54:55], s[12:13], v[144:145]
	v_add_f64 v[126:127], v[0:1], v[126:127]
	v_add_f64 v[130:131], v[134:135], v[130:131]
	v_fma_f64 v[134:135], v[32:33], s[20:21], -v[136:137]
	v_add_f64 v[62:63], v[76:77], v[62:63]
	v_add_f64 v[56:57], v[68:69], v[56:57]
	v_mul_f64 v[122:123], v[72:73], s[30:31]
	v_add_f64 v[124:125], v[132:133], v[124:125]
	v_fma_f64 v[132:133], v[64:65], s[6:7], -v[140:141]
	v_add_f64 v[126:127], v[144:145], v[126:127]
	v_fma_f64 v[128:129], v[52:53], s[6:7], v[128:129]
	v_add_f64 v[130:131], v[134:135], v[130:131]
	v_mul_f64 v[134:135], v[118:119], s[28:29]
	v_mul_f64 v[88:89], v[88:89], s[28:29]
	v_add_f64 v[50:51], v[62:63], v[50:51]
	v_add_f64 v[48:49], v[56:57], v[48:49]
	v_fma_f64 v[138:139], v[40:41], s[20:21], v[122:123]
	v_add_f64 v[124:125], v[132:133], v[124:125]
	v_fma_f64 v[122:123], v[40:41], s[20:21], -v[122:123]
	v_add_f64 v[126:127], v[128:129], v[126:127]
	v_fma_f64 v[128:129], v[78:79], s[16:17], v[134:135]
	v_mul_f64 v[90:91], v[90:91], s[24:25]
	v_mul_f64 v[82:83], v[84:85], s[22:23]
	v_fma_f64 v[78:79], v[78:79], s[16:17], -v[134:135]
	v_fma_f64 v[84:85], v[80:81], s[16:17], -v[88:89]
	v_fma_f64 v[80:81], v[80:81], s[16:17], v[88:89]
	v_mul_f64 v[70:71], v[70:71], s[24:25]
	v_add_f64 v[30:31], v[50:51], v[30:31]
	v_add_f64 v[28:29], v[48:49], v[28:29]
	;; [unrolled: 1-line block ×4, first 2 shown]
	v_fma_f64 v[122:123], v[60:61], s[18:19], v[90:91]
	v_add_f64 v[68:69], v[0:1], v[84:85]
	v_mul_f64 v[66:67], v[66:67], s[22:23]
	v_add_f64 v[2:3], v[2:3], v[78:79]
	v_fma_f64 v[56:57], v[60:61], s[18:19], -v[90:91]
	v_add_f64 v[0:1], v[0:1], v[80:81]
	v_fma_f64 v[48:49], v[54:55], s[18:19], v[70:71]
	v_fma_f64 v[84:85], v[54:55], s[18:19], -v[70:71]
	v_add_f64 v[26:27], v[30:31], v[26:27]
	v_add_f64 v[22:23], v[28:29], v[22:23]
	v_add_f64 v[74:75], v[122:123], v[86:87]
	v_fma_f64 v[76:77], v[64:65], s[20:21], v[82:83]
	v_mul_f64 v[72:73], v[72:73], s[14:15]
	v_fma_f64 v[62:63], v[52:53], s[20:21], -v[66:67]
	v_fma_f64 v[64:65], v[64:65], s[20:21], -v[82:83]
	v_add_f64 v[2:3], v[56:57], v[2:3]
	v_fma_f64 v[52:53], v[52:53], s[20:21], v[66:67]
	v_mul_f64 v[42:43], v[42:43], s[14:15]
	v_add_f64 v[0:1], v[48:49], v[0:1]
	v_mul_f64 v[142:143], v[58:59], s[26:27]
	v_mul_f64 v[146:147], v[38:39], s[26:27]
	v_add_f64 v[60:61], v[84:85], v[68:69]
	v_mul_f64 v[54:55], v[58:59], s[10:11]
	v_mul_f64 v[38:39], v[38:39], s[10:11]
	v_add_f64 v[24:25], v[26:27], v[24:25]
	v_add_f64 v[20:21], v[22:23], v[20:21]
	;; [unrolled: 1-line block ×3, first 2 shown]
	v_fma_f64 v[76:77], v[40:41], s[12:13], v[72:73]
	v_fma_f64 v[28:29], v[40:41], s[12:13], -v[72:73]
	v_add_f64 v[2:3], v[64:65], v[2:3]
	v_fma_f64 v[40:41], v[32:33], s[12:13], v[42:43]
	v_add_f64 v[0:1], v[52:53], v[0:1]
	v_fma_f64 v[132:133], v[32:33], s[20:21], v[136:137]
	;; [unrolled: 2-line block ×3, first 2 shown]
	v_fma_f64 v[118:119], v[36:37], s[16:17], -v[146:147]
	v_fma_f64 v[86:87], v[34:35], s[16:17], -v[142:143]
	v_fma_f64 v[88:89], v[36:37], s[16:17], v[146:147]
	v_add_f64 v[50:51], v[62:63], v[60:61]
	v_fma_f64 v[30:31], v[34:35], s[6:7], v[54:55]
	v_fma_f64 v[22:23], v[32:33], s[12:13], -v[42:43]
	v_fma_f64 v[26:27], v[34:35], s[6:7], -v[54:55]
	;; [unrolled: 1-line block ×3, first 2 shown]
	v_fma_f64 v[34:35], v[36:37], s[6:7], v[38:39]
	v_add_f64 v[18:19], v[24:25], v[18:19]
	v_add_f64 v[36:37], v[20:21], v[16:17]
	;; [unrolled: 1-line block ×13, first 2 shown]
	v_lshrrev_b32_e32 v12, 4, v44
	v_mul_u32_u24_e32 v12, 0xb0, v12
	v_or_b32_e32 v12, v12, v101
	v_lshlrev_b32_e32 v12, 4, v12
	v_add3_u32 v12, 0, v12, v98
	v_add_f64 v[120:121], v[138:139], v[120:121]
	v_add_f64 v[118:119], v[118:119], v[130:131]
	;; [unrolled: 1-line block ×4, first 2 shown]
	ds_write_b128 v12, v[22:25]
	ds_write_b128 v12, v[18:21] offset:256
	ds_write_b128 v12, v[0:3] offset:512
	;; [unrolled: 1-line block ×10, first 2 shown]
.LBB0_21:
	s_or_b64 exec, exec, s[4:5]
	v_lshlrev_b32_e32 v0, 2, v44
	v_mov_b32_e32 v1, 0
	v_lshlrev_b64 v[2:3], 4, v[0:1]
	v_mov_b32_e32 v20, s9
	v_add_co_u32_e32 v18, vcc, s8, v2
	v_addc_co_u32_e32 v19, vcc, v20, v3, vcc
	s_waitcnt lgkmcnt(0)
	s_barrier
	global_load_dwordx4 v[2:5], v[18:19], off offset:2800
	global_load_dwordx4 v[6:9], v[18:19], off offset:2784
	;; [unrolled: 1-line block ×4, first 2 shown]
	v_lshlrev_b32_e32 v0, 2, v99
	v_lshlrev_b64 v[18:19], 4, v[0:1]
	s_mov_b32 s13, 0x3fee6f0e
	v_add_co_u32_e32 v34, vcc, s8, v18
	v_addc_co_u32_e32 v35, vcc, v20, v19, vcc
	global_load_dwordx4 v[18:21], v[34:35], off offset:2784
	global_load_dwordx4 v[22:25], v[34:35], off offset:2800
	;; [unrolled: 1-line block ×4, first 2 shown]
	ds_read_b128 v[34:37], v96
	ds_read_b128 v[38:41], v45 offset:1408
	ds_read_b128 v[48:51], v45 offset:2816
	;; [unrolled: 1-line block ×9, first 2 shown]
	s_mov_b32 s8, 0x134454ff
	s_mov_b32 s9, 0xbfee6f0e
	;; [unrolled: 1-line block ×9, first 2 shown]
	v_sub_u32_e32 v0, v100, v97
	v_lshl_add_u32 v0, v95, 4, v0
	s_waitcnt vmcnt(0) lgkmcnt(0)
	s_barrier
	v_mul_f64 v[80:81], v[58:59], v[4:5]
	v_mul_f64 v[42:43], v[50:51], v[8:9]
	;; [unrolled: 1-line block ×14, first 2 shown]
	v_fma_f64 v[42:43], v[48:49], v[6:7], v[42:43]
	v_fma_f64 v[6:7], v[50:51], v[6:7], -v[8:9]
	v_fma_f64 v[8:9], v[56:57], v[2:3], v[80:81]
	v_fma_f64 v[2:3], v[58:59], v[2:3], -v[4:5]
	;; [unrolled: 2-line block ×3, first 2 shown]
	v_fma_f64 v[16:17], v[72:73], v[10:11], v[84:85]
	v_mul_f64 v[88:89], v[62:63], v[24:25]
	v_mul_f64 v[24:25], v[60:61], v[24:25]
	v_fma_f64 v[10:11], v[74:75], v[10:11], -v[12:13]
	v_fma_f64 v[48:49], v[52:53], v[18:19], v[86:87]
	v_fma_f64 v[50:51], v[54:55], v[18:19], -v[20:21]
	v_fma_f64 v[54:55], v[68:69], v[26:27], v[90:91]
	;; [unrolled: 2-line block ×3, first 2 shown]
	v_fma_f64 v[30:31], v[78:79], v[30:31], -v[32:33]
	v_add_f64 v[12:13], v[34:35], v[42:43]
	v_add_f64 v[18:19], v[8:9], v[4:5]
	v_add_f64 v[32:33], v[42:43], -v[8:9]
	v_add_f64 v[56:57], v[16:17], -v[4:5]
	v_add_f64 v[58:59], v[42:43], v[16:17]
	v_fma_f64 v[52:53], v[60:61], v[22:23], v[88:89]
	v_fma_f64 v[24:25], v[62:63], v[22:23], -v[24:25]
	v_add_f64 v[20:21], v[6:7], -v[10:11]
	v_add_f64 v[22:23], v[2:3], -v[14:15]
	;; [unrolled: 1-line block ×4, first 2 shown]
	v_add_f64 v[64:65], v[36:37], v[6:7]
	v_add_f64 v[68:69], v[8:9], -v[4:5]
	v_add_f64 v[70:71], v[6:7], -v[2:3]
	v_add_f64 v[74:75], v[6:7], v[10:11]
	v_add_f64 v[76:77], v[2:3], -v[6:7]
	v_add_f64 v[6:7], v[38:39], v[48:49]
	v_add_f64 v[8:9], v[12:13], v[8:9]
	v_fma_f64 v[12:13], v[18:19], -0.5, v[34:35]
	v_add_f64 v[18:19], v[32:33], v[56:57]
	v_fma_f64 v[32:33], v[58:59], -0.5, v[34:35]
	v_add_f64 v[66:67], v[2:3], v[14:15]
	v_add_f64 v[80:81], v[52:53], v[54:55]
	;; [unrolled: 1-line block ×6, first 2 shown]
	v_fma_f64 v[6:7], v[20:21], s[8:9], v[12:13]
	v_fma_f64 v[8:9], v[20:21], s[12:13], v[12:13]
	;; [unrolled: 1-line block ×3, first 2 shown]
	v_add_f64 v[42:43], v[42:43], -v[16:17]
	v_fma_f64 v[56:57], v[66:67], -0.5, v[36:37]
	v_fma_f64 v[36:37], v[74:75], -0.5, v[36:37]
	v_fma_f64 v[32:33], v[22:23], s[8:9], v[32:33]
	v_add_f64 v[72:73], v[10:11], -v[14:15]
	v_add_f64 v[78:79], v[14:15], -v[10:11]
	;; [unrolled: 1-line block ×3, first 2 shown]
	v_fma_f64 v[62:63], v[80:81], -0.5, v[38:39]
	v_add_f64 v[14:15], v[2:3], v[14:15]
	v_fma_f64 v[8:9], v[22:23], s[10:11], v[8:9]
	v_fma_f64 v[12:13], v[20:21], s[4:5], v[12:13]
	;; [unrolled: 1-line block ×9, first 2 shown]
	v_add_f64 v[2:3], v[4:5], v[16:17]
	v_add_f64 v[4:5], v[14:15], v[10:11]
	v_fma_f64 v[10:11], v[18:19], s[6:7], v[8:9]
	v_fma_f64 v[14:15], v[34:35], s[6:7], v[12:13]
	v_add_f64 v[32:33], v[24:25], -v[26:27]
	v_add_f64 v[8:9], v[48:49], -v[52:53]
	;; [unrolled: 1-line block ×3, first 2 shown]
	v_add_f64 v[58:59], v[70:71], v[72:73]
	v_fma_f64 v[16:17], v[68:69], s[10:11], v[64:65]
	v_fma_f64 v[6:7], v[18:19], s[6:7], v[6:7]
	;; [unrolled: 1-line block ×4, first 2 shown]
	v_add_f64 v[34:35], v[48:49], v[28:29]
	v_add_f64 v[64:65], v[76:77], v[78:79]
	v_fma_f64 v[36:37], v[42:43], s[4:5], v[36:37]
	v_fma_f64 v[56:57], v[42:43], s[10:11], v[66:67]
	v_add_f64 v[42:43], v[60:61], v[54:55]
	v_fma_f64 v[60:61], v[32:33], s[4:5], v[22:23]
	v_add_f64 v[66:67], v[8:9], v[12:13]
	v_fma_f64 v[12:13], v[58:59], s[6:7], v[20:21]
	v_fma_f64 v[34:35], v[34:35], -0.5, v[38:39]
	v_fma_f64 v[8:9], v[58:59], s[6:7], v[16:17]
	v_fma_f64 v[20:21], v[64:65], s[6:7], v[36:37]
	v_add_f64 v[36:37], v[24:25], v[26:27]
	v_fma_f64 v[16:17], v[64:65], s[6:7], v[56:57]
	v_add_f64 v[22:23], v[42:43], v[28:29]
	;; [unrolled: 2-line block ×3, first 2 shown]
	v_fma_f64 v[42:43], v[82:83], s[12:13], v[62:63]
	v_fma_f64 v[56:57], v[32:33], s[12:13], v[34:35]
	v_add_f64 v[58:59], v[52:53], -v[48:49]
	v_add_f64 v[62:63], v[54:55], -v[28:29]
	v_add_f64 v[64:65], v[40:41], v[50:51]
	v_fma_f64 v[36:37], v[36:37], -0.5, v[40:41]
	v_add_f64 v[28:29], v[48:49], -v[28:29]
	v_add_f64 v[52:53], v[52:53], -v[54:55]
	v_fma_f64 v[40:41], v[60:61], -0.5, v[40:41]
	v_fma_f64 v[42:43], v[32:33], s[10:11], v[42:43]
	v_fma_f64 v[48:49], v[82:83], s[4:5], v[56:57]
	v_add_f64 v[54:55], v[58:59], v[62:63]
	v_fma_f64 v[32:33], v[32:33], s[8:9], v[34:35]
	v_add_f64 v[34:35], v[64:65], v[24:25]
	v_fma_f64 v[56:57], v[28:29], s[12:13], v[36:37]
	v_add_f64 v[58:59], v[50:51], -v[24:25]
	v_add_f64 v[60:61], v[30:31], -v[26:27]
	v_fma_f64 v[36:37], v[28:29], s[8:9], v[36:37]
	v_fma_f64 v[62:63], v[52:53], s[8:9], v[40:41]
	v_add_f64 v[24:25], v[24:25], -v[50:51]
	v_add_f64 v[50:51], v[26:27], -v[30:31]
	v_fma_f64 v[40:41], v[52:53], s[12:13], v[40:41]
	v_add_f64 v[26:27], v[34:35], v[26:27]
	v_fma_f64 v[34:35], v[52:53], s[10:11], v[56:57]
	v_add_f64 v[56:57], v[58:59], v[60:61]
	v_fma_f64 v[36:37], v[52:53], s[4:5], v[36:37]
	v_fma_f64 v[52:53], v[28:29], s[10:11], v[62:63]
	v_fma_f64 v[32:33], v[82:83], s[10:11], v[32:33]
	v_add_f64 v[50:51], v[24:25], v[50:51]
	v_fma_f64 v[28:29], v[28:29], s[4:5], v[40:41]
	v_add_f64 v[24:25], v[26:27], v[30:31]
	v_fma_f64 v[40:41], v[66:67], s[6:7], v[42:43]
	v_fma_f64 v[26:27], v[56:57], s[6:7], v[34:35]
	;; [unrolled: 1-line block ×7, first 2 shown]
	ds_write_b128 v45, v[2:5]
	ds_write_b128 v45, v[6:9] offset:2816
	ds_write_b128 v45, v[14:17] offset:5632
	ds_write_b128 v45, v[18:21] offset:8448
	ds_write_b128 v45, v[10:13] offset:11264
	ds_write_b128 v45, v[22:25] offset:1408
	v_add_u32_e32 v2, 0x1000, v0
	ds_write2_b64 v2, v[38:39], v[26:27] offset0:16 offset1:17
	v_add_u32_e32 v2, 0x1800, v0
	ds_write2_b64 v2, v[42:43], v[34:35] offset0:112 offset1:113
	v_add_u32_e32 v2, 0x2000, v0
	v_add_u32_e32 v0, 0x3000, v0
	ds_write2_b64 v2, v[32:33], v[28:29] offset0:208 offset1:209
	ds_write2_b64 v0, v[40:41], v[30:31] offset0:48 offset1:49
	s_waitcnt lgkmcnt(0)
	s_barrier
	s_and_saveexec_b64 s[4:5], s[0:1]
	s_cbranch_execz .LBB0_23
; %bb.22:
	v_lshl_add_u32 v12, v44, 4, v94
	v_mov_b32_e32 v45, v1
	ds_read_b128 v[2:5], v12
	v_mov_b32_e32 v0, s3
	v_add_co_u32_e32 v13, vcc, s2, v46
	v_lshlrev_b64 v[6:7], 4, v[44:45]
	v_addc_co_u32_e32 v14, vcc, v0, v47, vcc
	v_add_co_u32_e32 v10, vcc, v13, v6
	v_addc_co_u32_e32 v11, vcc, v14, v7, vcc
	ds_read_b128 v[6:9], v12 offset:1408
	v_add_u32_e32 v0, 0x58, v44
	s_waitcnt lgkmcnt(1)
	global_store_dwordx4 v[10:11], v[2:5], off
	s_nop 0
	v_lshlrev_b64 v[2:3], 4, v[0:1]
	v_add_u32_e32 v0, 0xb0, v44
	v_add_co_u32_e32 v2, vcc, v13, v2
	v_addc_co_u32_e32 v3, vcc, v14, v3, vcc
	s_waitcnt lgkmcnt(0)
	global_store_dwordx4 v[2:3], v[6:9], off
	ds_read_b128 v[2:5], v12 offset:2816
	v_lshlrev_b64 v[6:7], 4, v[0:1]
	v_add_u32_e32 v0, 0x108, v44
	v_add_co_u32_e32 v10, vcc, v13, v6
	v_addc_co_u32_e32 v11, vcc, v14, v7, vcc
	ds_read_b128 v[6:9], v12 offset:4224
	s_waitcnt lgkmcnt(1)
	global_store_dwordx4 v[10:11], v[2:5], off
	s_nop 0
	v_lshlrev_b64 v[2:3], 4, v[0:1]
	v_add_u32_e32 v0, 0x160, v44
	v_add_co_u32_e32 v2, vcc, v13, v2
	v_addc_co_u32_e32 v3, vcc, v14, v3, vcc
	s_waitcnt lgkmcnt(0)
	global_store_dwordx4 v[2:3], v[6:9], off
	ds_read_b128 v[2:5], v12 offset:5632
	v_lshlrev_b64 v[6:7], 4, v[0:1]
	v_add_u32_e32 v0, 0x1b8, v44
	v_add_co_u32_e32 v10, vcc, v13, v6
	v_addc_co_u32_e32 v11, vcc, v14, v7, vcc
	ds_read_b128 v[6:9], v12 offset:7040
	;; [unrolled: 15-line block ×4, first 2 shown]
	v_lshlrev_b64 v[0:1], 4, v[0:1]
	s_waitcnt lgkmcnt(1)
	global_store_dwordx4 v[10:11], v[2:5], off
	v_add_co_u32_e32 v0, vcc, v13, v0
	v_addc_co_u32_e32 v1, vcc, v14, v1, vcc
	s_waitcnt lgkmcnt(0)
	global_store_dwordx4 v[0:1], v[6:9], off
.LBB0_23:
	s_endpgm
	.section	.rodata,"a",@progbits
	.p2align	6, 0x0
	.amdhsa_kernel fft_rtc_back_len880_factors_2_2_2_2_11_5_wgs_176_tpt_88_halfLds_dp_ip_CI_unitstride_sbrr_C2R_dirReg
		.amdhsa_group_segment_fixed_size 0
		.amdhsa_private_segment_fixed_size 0
		.amdhsa_kernarg_size 88
		.amdhsa_user_sgpr_count 6
		.amdhsa_user_sgpr_private_segment_buffer 1
		.amdhsa_user_sgpr_dispatch_ptr 0
		.amdhsa_user_sgpr_queue_ptr 0
		.amdhsa_user_sgpr_kernarg_segment_ptr 1
		.amdhsa_user_sgpr_dispatch_id 0
		.amdhsa_user_sgpr_flat_scratch_init 0
		.amdhsa_user_sgpr_private_segment_size 0
		.amdhsa_uses_dynamic_stack 0
		.amdhsa_system_sgpr_private_segment_wavefront_offset 0
		.amdhsa_system_sgpr_workgroup_id_x 1
		.amdhsa_system_sgpr_workgroup_id_y 0
		.amdhsa_system_sgpr_workgroup_id_z 0
		.amdhsa_system_sgpr_workgroup_info 0
		.amdhsa_system_vgpr_workitem_id 0
		.amdhsa_next_free_vgpr 148
		.amdhsa_next_free_sgpr 36
		.amdhsa_reserve_vcc 1
		.amdhsa_reserve_flat_scratch 0
		.amdhsa_float_round_mode_32 0
		.amdhsa_float_round_mode_16_64 0
		.amdhsa_float_denorm_mode_32 3
		.amdhsa_float_denorm_mode_16_64 3
		.amdhsa_dx10_clamp 1
		.amdhsa_ieee_mode 1
		.amdhsa_fp16_overflow 0
		.amdhsa_exception_fp_ieee_invalid_op 0
		.amdhsa_exception_fp_denorm_src 0
		.amdhsa_exception_fp_ieee_div_zero 0
		.amdhsa_exception_fp_ieee_overflow 0
		.amdhsa_exception_fp_ieee_underflow 0
		.amdhsa_exception_fp_ieee_inexact 0
		.amdhsa_exception_int_div_zero 0
	.end_amdhsa_kernel
	.text
.Lfunc_end0:
	.size	fft_rtc_back_len880_factors_2_2_2_2_11_5_wgs_176_tpt_88_halfLds_dp_ip_CI_unitstride_sbrr_C2R_dirReg, .Lfunc_end0-fft_rtc_back_len880_factors_2_2_2_2_11_5_wgs_176_tpt_88_halfLds_dp_ip_CI_unitstride_sbrr_C2R_dirReg
                                        ; -- End function
	.section	.AMDGPU.csdata,"",@progbits
; Kernel info:
; codeLenInByte = 10044
; NumSgprs: 40
; NumVgprs: 148
; ScratchSize: 0
; MemoryBound: 0
; FloatMode: 240
; IeeeMode: 1
; LDSByteSize: 0 bytes/workgroup (compile time only)
; SGPRBlocks: 4
; VGPRBlocks: 36
; NumSGPRsForWavesPerEU: 40
; NumVGPRsForWavesPerEU: 148
; Occupancy: 1
; WaveLimiterHint : 1
; COMPUTE_PGM_RSRC2:SCRATCH_EN: 0
; COMPUTE_PGM_RSRC2:USER_SGPR: 6
; COMPUTE_PGM_RSRC2:TRAP_HANDLER: 0
; COMPUTE_PGM_RSRC2:TGID_X_EN: 1
; COMPUTE_PGM_RSRC2:TGID_Y_EN: 0
; COMPUTE_PGM_RSRC2:TGID_Z_EN: 0
; COMPUTE_PGM_RSRC2:TIDIG_COMP_CNT: 0
	.type	__hip_cuid_23e2e649dfa6e160,@object ; @__hip_cuid_23e2e649dfa6e160
	.section	.bss,"aw",@nobits
	.globl	__hip_cuid_23e2e649dfa6e160
__hip_cuid_23e2e649dfa6e160:
	.byte	0                               ; 0x0
	.size	__hip_cuid_23e2e649dfa6e160, 1

	.ident	"AMD clang version 19.0.0git (https://github.com/RadeonOpenCompute/llvm-project roc-6.4.0 25133 c7fe45cf4b819c5991fe208aaa96edf142730f1d)"
	.section	".note.GNU-stack","",@progbits
	.addrsig
	.addrsig_sym __hip_cuid_23e2e649dfa6e160
	.amdgpu_metadata
---
amdhsa.kernels:
  - .args:
      - .actual_access:  read_only
        .address_space:  global
        .offset:         0
        .size:           8
        .value_kind:     global_buffer
      - .offset:         8
        .size:           8
        .value_kind:     by_value
      - .actual_access:  read_only
        .address_space:  global
        .offset:         16
        .size:           8
        .value_kind:     global_buffer
      - .actual_access:  read_only
        .address_space:  global
        .offset:         24
        .size:           8
        .value_kind:     global_buffer
      - .offset:         32
        .size:           8
        .value_kind:     by_value
      - .actual_access:  read_only
        .address_space:  global
        .offset:         40
        .size:           8
        .value_kind:     global_buffer
      - .actual_access:  read_only
        .address_space:  global
        .offset:         48
        .size:           8
        .value_kind:     global_buffer
      - .offset:         56
        .size:           4
        .value_kind:     by_value
      - .actual_access:  read_only
        .address_space:  global
        .offset:         64
        .size:           8
        .value_kind:     global_buffer
      - .actual_access:  read_only
        .address_space:  global
        .offset:         72
        .size:           8
        .value_kind:     global_buffer
      - .address_space:  global
        .offset:         80
        .size:           8
        .value_kind:     global_buffer
    .group_segment_fixed_size: 0
    .kernarg_segment_align: 8
    .kernarg_segment_size: 88
    .language:       OpenCL C
    .language_version:
      - 2
      - 0
    .max_flat_workgroup_size: 176
    .name:           fft_rtc_back_len880_factors_2_2_2_2_11_5_wgs_176_tpt_88_halfLds_dp_ip_CI_unitstride_sbrr_C2R_dirReg
    .private_segment_fixed_size: 0
    .sgpr_count:     40
    .sgpr_spill_count: 0
    .symbol:         fft_rtc_back_len880_factors_2_2_2_2_11_5_wgs_176_tpt_88_halfLds_dp_ip_CI_unitstride_sbrr_C2R_dirReg.kd
    .uniform_work_group_size: 1
    .uses_dynamic_stack: false
    .vgpr_count:     148
    .vgpr_spill_count: 0
    .wavefront_size: 64
amdhsa.target:   amdgcn-amd-amdhsa--gfx906
amdhsa.version:
  - 1
  - 2
...

	.end_amdgpu_metadata
